;; amdgpu-corpus repo=zjin-lcf/HeCBench kind=compiled arch=gfx906 opt=O3
	.amdgcn_target "amdgcn-amd-amdhsa--gfx906"
	.amdhsa_code_object_version 6
	.text
	.protected	_Z20f16AtomicOnGlobalMemP6__halfi ; -- Begin function _Z20f16AtomicOnGlobalMemP6__halfi
	.globl	_Z20f16AtomicOnGlobalMemP6__halfi
	.p2align	8
	.type	_Z20f16AtomicOnGlobalMemP6__halfi,@function
_Z20f16AtomicOnGlobalMemP6__halfi:      ; @_Z20f16AtomicOnGlobalMemP6__halfi
; %bb.0:
	s_load_dword s0, s[4:5], 0x1c
	s_load_dword s1, s[4:5], 0x8
	s_waitcnt lgkmcnt(0)
	s_and_b32 s0, s0, 0xffff
	s_mul_i32 s6, s6, s0
	v_add_u32_e32 v0, s6, v0
	v_cmp_gt_i32_e32 vcc, s1, v0
	s_and_saveexec_b64 s[0:1], vcc
	s_cbranch_execz .LBB0_4
; %bb.1:
	v_ashrrev_i32_e32 v1, 31, v0
	v_add_u32_sdwa v1, v0, v1 dst_sel:DWORD dst_unused:UNUSED_PAD src0_sel:DWORD src1_sel:BYTE_3
	s_load_dwordx2 s[0:1], s[4:5], 0x0
	v_and_b32_e32 v1, 0xffffff00, v1
	v_sub_u32_e32 v0, v0, v1
	v_ashrrev_i32_e32 v1, 31, v0
	v_lshlrev_b64 v[0:1], 2, v[0:1]
	s_waitcnt lgkmcnt(0)
	v_mov_b32_e32 v2, s1
	v_add_co_u32_e32 v0, vcc, s0, v0
	v_addc_co_u32_e32 v1, vcc, v2, v1, vcc
	global_load_dword v4, v[0:1], off glc
	s_waitcnt vmcnt(0)
	v_pk_add_f16 v3, v4, 1.0 op_sel:[0,1] op_sel_hi:[1,0]
	global_atomic_cmpswap v3, v[0:1], v[3:4], off glc
	s_waitcnt vmcnt(0)
	v_cmp_ne_u32_e32 vcc, v3, v4
	s_and_b64 exec, exec, vcc
	s_cbranch_execz .LBB0_4
; %bb.2:
	s_mov_b64 s[0:1], 0
.LBB0_3:                                ; =>This Inner Loop Header: Depth=1
	v_pk_add_f16 v2, v3, 1.0 op_sel:[0,1] op_sel_hi:[1,0]
	global_atomic_cmpswap v2, v[0:1], v[2:3], off glc
	s_waitcnt vmcnt(0)
	v_cmp_eq_u32_e32 vcc, v2, v3
	s_or_b64 s[0:1], vcc, s[0:1]
	v_mov_b32_e32 v3, v2
	s_andn2_b64 exec, exec, s[0:1]
	s_cbranch_execnz .LBB0_3
.LBB0_4:
	s_endpgm
	.section	.rodata,"a",@progbits
	.p2align	6, 0x0
	.amdhsa_kernel _Z20f16AtomicOnGlobalMemP6__halfi
		.amdhsa_group_segment_fixed_size 0
		.amdhsa_private_segment_fixed_size 0
		.amdhsa_kernarg_size 272
		.amdhsa_user_sgpr_count 6
		.amdhsa_user_sgpr_private_segment_buffer 1
		.amdhsa_user_sgpr_dispatch_ptr 0
		.amdhsa_user_sgpr_queue_ptr 0
		.amdhsa_user_sgpr_kernarg_segment_ptr 1
		.amdhsa_user_sgpr_dispatch_id 0
		.amdhsa_user_sgpr_flat_scratch_init 0
		.amdhsa_user_sgpr_private_segment_size 0
		.amdhsa_uses_dynamic_stack 0
		.amdhsa_system_sgpr_private_segment_wavefront_offset 0
		.amdhsa_system_sgpr_workgroup_id_x 1
		.amdhsa_system_sgpr_workgroup_id_y 0
		.amdhsa_system_sgpr_workgroup_id_z 0
		.amdhsa_system_sgpr_workgroup_info 0
		.amdhsa_system_vgpr_workitem_id 0
		.amdhsa_next_free_vgpr 5
		.amdhsa_next_free_sgpr 7
		.amdhsa_reserve_vcc 1
		.amdhsa_reserve_flat_scratch 0
		.amdhsa_float_round_mode_32 0
		.amdhsa_float_round_mode_16_64 0
		.amdhsa_float_denorm_mode_32 3
		.amdhsa_float_denorm_mode_16_64 3
		.amdhsa_dx10_clamp 1
		.amdhsa_ieee_mode 1
		.amdhsa_fp16_overflow 0
		.amdhsa_exception_fp_ieee_invalid_op 0
		.amdhsa_exception_fp_denorm_src 0
		.amdhsa_exception_fp_ieee_div_zero 0
		.amdhsa_exception_fp_ieee_overflow 0
		.amdhsa_exception_fp_ieee_underflow 0
		.amdhsa_exception_fp_ieee_inexact 0
		.amdhsa_exception_int_div_zero 0
	.end_amdhsa_kernel
	.text
.Lfunc_end0:
	.size	_Z20f16AtomicOnGlobalMemP6__halfi, .Lfunc_end0-_Z20f16AtomicOnGlobalMemP6__halfi
                                        ; -- End function
	.set _Z20f16AtomicOnGlobalMemP6__halfi.num_vgpr, 5
	.set _Z20f16AtomicOnGlobalMemP6__halfi.num_agpr, 0
	.set _Z20f16AtomicOnGlobalMemP6__halfi.numbered_sgpr, 7
	.set _Z20f16AtomicOnGlobalMemP6__halfi.num_named_barrier, 0
	.set _Z20f16AtomicOnGlobalMemP6__halfi.private_seg_size, 0
	.set _Z20f16AtomicOnGlobalMemP6__halfi.uses_vcc, 1
	.set _Z20f16AtomicOnGlobalMemP6__halfi.uses_flat_scratch, 0
	.set _Z20f16AtomicOnGlobalMemP6__halfi.has_dyn_sized_stack, 0
	.set _Z20f16AtomicOnGlobalMemP6__halfi.has_recursion, 0
	.set _Z20f16AtomicOnGlobalMemP6__halfi.has_indirect_call, 0
	.section	.AMDGPU.csdata,"",@progbits
; Kernel info:
; codeLenInByte = 200
; TotalNumSgprs: 11
; NumVgprs: 5
; ScratchSize: 0
; MemoryBound: 0
; FloatMode: 240
; IeeeMode: 1
; LDSByteSize: 0 bytes/workgroup (compile time only)
; SGPRBlocks: 1
; VGPRBlocks: 1
; NumSGPRsForWavesPerEU: 11
; NumVGPRsForWavesPerEU: 5
; Occupancy: 10
; WaveLimiterHint : 0
; COMPUTE_PGM_RSRC2:SCRATCH_EN: 0
; COMPUTE_PGM_RSRC2:USER_SGPR: 6
; COMPUTE_PGM_RSRC2:TRAP_HANDLER: 0
; COMPUTE_PGM_RSRC2:TGID_X_EN: 1
; COMPUTE_PGM_RSRC2:TGID_Y_EN: 0
; COMPUTE_PGM_RSRC2:TGID_Z_EN: 0
; COMPUTE_PGM_RSRC2:TIDIG_COMP_CNT: 0
	.text
	.protected	_Z20f16AtomicOnGlobalMemP14__hip_bfloat16i ; -- Begin function _Z20f16AtomicOnGlobalMemP14__hip_bfloat16i
	.globl	_Z20f16AtomicOnGlobalMemP14__hip_bfloat16i
	.p2align	8
	.type	_Z20f16AtomicOnGlobalMemP14__hip_bfloat16i,@function
_Z20f16AtomicOnGlobalMemP14__hip_bfloat16i: ; @_Z20f16AtomicOnGlobalMemP14__hip_bfloat16i
; %bb.0:
	s_load_dword s0, s[4:5], 0x1c
	s_load_dword s1, s[4:5], 0x8
	s_waitcnt lgkmcnt(0)
	s_and_b32 s0, s0, 0xffff
	s_mul_i32 s6, s6, s0
	v_add_u32_e32 v0, s6, v0
	v_cmp_gt_i32_e32 vcc, s1, v0
	s_and_saveexec_b64 s[0:1], vcc
	s_cbranch_execz .LBB1_4
; %bb.1:
	v_ashrrev_i32_e32 v1, 31, v0
	v_add_u32_sdwa v1, v0, v1 dst_sel:DWORD dst_unused:UNUSED_PAD src0_sel:DWORD src1_sel:BYTE_3
	s_load_dwordx2 s[0:1], s[4:5], 0x0
	v_and_b32_e32 v1, 0xffffff00, v1
	v_sub_u32_e32 v0, v0, v1
	v_ashrrev_i32_e32 v1, 31, v0
	v_lshlrev_b64 v[0:1], 2, v[0:1]
	s_waitcnt lgkmcnt(0)
	v_mov_b32_e32 v2, s1
	v_add_co_u32_e32 v0, vcc, s0, v0
	v_addc_co_u32_e32 v1, vcc, v2, v1, vcc
	global_load_dword v4, v[0:1], off glc
	s_movk_i32 s4, 0x7fff
	s_mov_b32 s5, 0x7060302
	s_waitcnt vmcnt(0)
	v_lshlrev_b32_e32 v2, 16, v4
	v_and_b32_e32 v3, 0xffff0000, v4
	v_add_f32_e32 v2, 0, v2
	v_add_f32_e32 v3, 1.0, v3
	v_bfe_u32 v5, v2, 16, 1
	v_or_b32_e32 v6, 0x400000, v2
	v_bfe_u32 v7, v3, 16, 1
	v_add3_u32 v5, v5, v2, s4
	v_cmp_u_f32_e32 vcc, v2, v2
	v_or_b32_e32 v8, 0x400000, v3
	v_add3_u32 v7, v7, v3, s4
	v_cndmask_b32_e32 v2, v5, v6, vcc
	v_cmp_u_f32_e32 vcc, v3, v3
	v_cndmask_b32_e32 v3, v7, v8, vcc
	v_perm_b32 v3, v3, v2, s5
	global_atomic_cmpswap v3, v[0:1], v[3:4], off glc
	s_waitcnt vmcnt(0)
	v_cmp_ne_u32_e32 vcc, v3, v4
	s_and_b64 exec, exec, vcc
	s_cbranch_execz .LBB1_4
; %bb.2:
	s_mov_b64 s[2:3], 0
.LBB1_3:                                ; =>This Inner Loop Header: Depth=1
	v_lshlrev_b32_e32 v2, 16, v3
	v_and_b32_e32 v4, 0xffff0000, v3
	v_add_f32_e32 v2, 0, v2
	v_add_f32_e32 v4, 1.0, v4
	v_bfe_u32 v5, v2, 16, 1
	v_bfe_u32 v7, v4, 16, 1
	v_or_b32_e32 v6, 0x400000, v2
	v_or_b32_e32 v8, 0x400000, v4
	v_add3_u32 v5, v5, v2, s4
	v_add3_u32 v7, v7, v4, s4
	v_cmp_u_f32_e32 vcc, v4, v4
	v_cmp_u_f32_e64 s[0:1], v2, v2
	v_cndmask_b32_e64 v2, v5, v6, s[0:1]
	v_cndmask_b32_e32 v4, v7, v8, vcc
	v_perm_b32 v2, v4, v2, s5
	global_atomic_cmpswap v2, v[0:1], v[2:3], off glc
	s_waitcnt vmcnt(0)
	v_cmp_eq_u32_e32 vcc, v2, v3
	s_or_b64 s[2:3], vcc, s[2:3]
	v_mov_b32_e32 v3, v2
	s_andn2_b64 exec, exec, s[2:3]
	s_cbranch_execnz .LBB1_3
.LBB1_4:
	s_endpgm
	.section	.rodata,"a",@progbits
	.p2align	6, 0x0
	.amdhsa_kernel _Z20f16AtomicOnGlobalMemP14__hip_bfloat16i
		.amdhsa_group_segment_fixed_size 0
		.amdhsa_private_segment_fixed_size 0
		.amdhsa_kernarg_size 272
		.amdhsa_user_sgpr_count 6
		.amdhsa_user_sgpr_private_segment_buffer 1
		.amdhsa_user_sgpr_dispatch_ptr 0
		.amdhsa_user_sgpr_queue_ptr 0
		.amdhsa_user_sgpr_kernarg_segment_ptr 1
		.amdhsa_user_sgpr_dispatch_id 0
		.amdhsa_user_sgpr_flat_scratch_init 0
		.amdhsa_user_sgpr_private_segment_size 0
		.amdhsa_uses_dynamic_stack 0
		.amdhsa_system_sgpr_private_segment_wavefront_offset 0
		.amdhsa_system_sgpr_workgroup_id_x 1
		.amdhsa_system_sgpr_workgroup_id_y 0
		.amdhsa_system_sgpr_workgroup_id_z 0
		.amdhsa_system_sgpr_workgroup_info 0
		.amdhsa_system_vgpr_workitem_id 0
		.amdhsa_next_free_vgpr 9
		.amdhsa_next_free_sgpr 7
		.amdhsa_reserve_vcc 1
		.amdhsa_reserve_flat_scratch 0
		.amdhsa_float_round_mode_32 0
		.amdhsa_float_round_mode_16_64 0
		.amdhsa_float_denorm_mode_32 3
		.amdhsa_float_denorm_mode_16_64 3
		.amdhsa_dx10_clamp 1
		.amdhsa_ieee_mode 1
		.amdhsa_fp16_overflow 0
		.amdhsa_exception_fp_ieee_invalid_op 0
		.amdhsa_exception_fp_denorm_src 0
		.amdhsa_exception_fp_ieee_div_zero 0
		.amdhsa_exception_fp_ieee_overflow 0
		.amdhsa_exception_fp_ieee_underflow 0
		.amdhsa_exception_fp_ieee_inexact 0
		.amdhsa_exception_int_div_zero 0
	.end_amdhsa_kernel
	.text
.Lfunc_end1:
	.size	_Z20f16AtomicOnGlobalMemP14__hip_bfloat16i, .Lfunc_end1-_Z20f16AtomicOnGlobalMemP14__hip_bfloat16i
                                        ; -- End function
	.set _Z20f16AtomicOnGlobalMemP14__hip_bfloat16i.num_vgpr, 9
	.set _Z20f16AtomicOnGlobalMemP14__hip_bfloat16i.num_agpr, 0
	.set _Z20f16AtomicOnGlobalMemP14__hip_bfloat16i.numbered_sgpr, 7
	.set _Z20f16AtomicOnGlobalMemP14__hip_bfloat16i.num_named_barrier, 0
	.set _Z20f16AtomicOnGlobalMemP14__hip_bfloat16i.private_seg_size, 0
	.set _Z20f16AtomicOnGlobalMemP14__hip_bfloat16i.uses_vcc, 1
	.set _Z20f16AtomicOnGlobalMemP14__hip_bfloat16i.uses_flat_scratch, 0
	.set _Z20f16AtomicOnGlobalMemP14__hip_bfloat16i.has_dyn_sized_stack, 0
	.set _Z20f16AtomicOnGlobalMemP14__hip_bfloat16i.has_recursion, 0
	.set _Z20f16AtomicOnGlobalMemP14__hip_bfloat16i.has_indirect_call, 0
	.section	.AMDGPU.csdata,"",@progbits
; Kernel info:
; codeLenInByte = 388
; TotalNumSgprs: 11
; NumVgprs: 9
; ScratchSize: 0
; MemoryBound: 0
; FloatMode: 240
; IeeeMode: 1
; LDSByteSize: 0 bytes/workgroup (compile time only)
; SGPRBlocks: 1
; VGPRBlocks: 2
; NumSGPRsForWavesPerEU: 11
; NumVGPRsForWavesPerEU: 9
; Occupancy: 10
; WaveLimiterHint : 0
; COMPUTE_PGM_RSRC2:SCRATCH_EN: 0
; COMPUTE_PGM_RSRC2:USER_SGPR: 6
; COMPUTE_PGM_RSRC2:TRAP_HANDLER: 0
; COMPUTE_PGM_RSRC2:TGID_X_EN: 1
; COMPUTE_PGM_RSRC2:TGID_Y_EN: 0
; COMPUTE_PGM_RSRC2:TGID_Z_EN: 0
; COMPUTE_PGM_RSRC2:TIDIG_COMP_CNT: 0
	.section	.AMDGPU.gpr_maximums,"",@progbits
	.set amdgpu.max_num_vgpr, 0
	.set amdgpu.max_num_agpr, 0
	.set amdgpu.max_num_sgpr, 0
	.section	.AMDGPU.csdata,"",@progbits
	.type	__hip_cuid_e7bb6cac0220be3c,@object ; @__hip_cuid_e7bb6cac0220be3c
	.section	.bss,"aw",@nobits
	.globl	__hip_cuid_e7bb6cac0220be3c
__hip_cuid_e7bb6cac0220be3c:
	.byte	0                               ; 0x0
	.size	__hip_cuid_e7bb6cac0220be3c, 1

	.ident	"AMD clang version 22.0.0git (https://github.com/RadeonOpenCompute/llvm-project roc-7.2.4 26084 f58b06dce1f9c15707c5f808fd002e18c2accf7e)"
	.section	".note.GNU-stack","",@progbits
	.addrsig
	.addrsig_sym __hip_cuid_e7bb6cac0220be3c
	.amdgpu_metadata
---
amdhsa.kernels:
  - .args:
      - .address_space:  global
        .offset:         0
        .size:           8
        .value_kind:     global_buffer
      - .offset:         8
        .size:           4
        .value_kind:     by_value
      - .offset:         16
        .size:           4
        .value_kind:     hidden_block_count_x
      - .offset:         20
        .size:           4
        .value_kind:     hidden_block_count_y
      - .offset:         24
        .size:           4
        .value_kind:     hidden_block_count_z
      - .offset:         28
        .size:           2
        .value_kind:     hidden_group_size_x
      - .offset:         30
        .size:           2
        .value_kind:     hidden_group_size_y
      - .offset:         32
        .size:           2
        .value_kind:     hidden_group_size_z
      - .offset:         34
        .size:           2
        .value_kind:     hidden_remainder_x
      - .offset:         36
        .size:           2
        .value_kind:     hidden_remainder_y
      - .offset:         38
        .size:           2
        .value_kind:     hidden_remainder_z
      - .offset:         56
        .size:           8
        .value_kind:     hidden_global_offset_x
      - .offset:         64
        .size:           8
        .value_kind:     hidden_global_offset_y
      - .offset:         72
        .size:           8
        .value_kind:     hidden_global_offset_z
      - .offset:         80
        .size:           2
        .value_kind:     hidden_grid_dims
    .group_segment_fixed_size: 0
    .kernarg_segment_align: 8
    .kernarg_segment_size: 272
    .language:       OpenCL C
    .language_version:
      - 2
      - 0
    .max_flat_workgroup_size: 1024
    .name:           _Z20f16AtomicOnGlobalMemP6__halfi
    .private_segment_fixed_size: 0
    .sgpr_count:     11
    .sgpr_spill_count: 0
    .symbol:         _Z20f16AtomicOnGlobalMemP6__halfi.kd
    .uniform_work_group_size: 1
    .uses_dynamic_stack: false
    .vgpr_count:     5
    .vgpr_spill_count: 0
    .wavefront_size: 64
  - .args:
      - .address_space:  global
        .offset:         0
        .size:           8
        .value_kind:     global_buffer
      - .offset:         8
        .size:           4
        .value_kind:     by_value
      - .offset:         16
        .size:           4
        .value_kind:     hidden_block_count_x
      - .offset:         20
        .size:           4
        .value_kind:     hidden_block_count_y
      - .offset:         24
        .size:           4
        .value_kind:     hidden_block_count_z
      - .offset:         28
        .size:           2
        .value_kind:     hidden_group_size_x
      - .offset:         30
        .size:           2
        .value_kind:     hidden_group_size_y
      - .offset:         32
        .size:           2
        .value_kind:     hidden_group_size_z
      - .offset:         34
        .size:           2
        .value_kind:     hidden_remainder_x
      - .offset:         36
        .size:           2
        .value_kind:     hidden_remainder_y
      - .offset:         38
        .size:           2
        .value_kind:     hidden_remainder_z
      - .offset:         56
        .size:           8
        .value_kind:     hidden_global_offset_x
      - .offset:         64
        .size:           8
        .value_kind:     hidden_global_offset_y
      - .offset:         72
        .size:           8
        .value_kind:     hidden_global_offset_z
      - .offset:         80
        .size:           2
        .value_kind:     hidden_grid_dims
    .group_segment_fixed_size: 0
    .kernarg_segment_align: 8
    .kernarg_segment_size: 272
    .language:       OpenCL C
    .language_version:
      - 2
      - 0
    .max_flat_workgroup_size: 1024
    .name:           _Z20f16AtomicOnGlobalMemP14__hip_bfloat16i
    .private_segment_fixed_size: 0
    .sgpr_count:     11
    .sgpr_spill_count: 0
    .symbol:         _Z20f16AtomicOnGlobalMemP14__hip_bfloat16i.kd
    .uniform_work_group_size: 1
    .uses_dynamic_stack: false
    .vgpr_count:     9
    .vgpr_spill_count: 0
    .wavefront_size: 64
amdhsa.target:   amdgcn-amd-amdhsa--gfx906
amdhsa.version:
  - 1
  - 2
...

	.end_amdgpu_metadata
